;; amdgpu-corpus repo=ROCm/rocFFT kind=compiled arch=gfx1030 opt=O3
	.text
	.amdgcn_target "amdgcn-amd-amdhsa--gfx1030"
	.amdhsa_code_object_version 6
	.protected	fft_rtc_back_len416_factors_13_2_16_wgs_64_tpt_32_sp_op_CI_CI_sbrr_dirReg ; -- Begin function fft_rtc_back_len416_factors_13_2_16_wgs_64_tpt_32_sp_op_CI_CI_sbrr_dirReg
	.globl	fft_rtc_back_len416_factors_13_2_16_wgs_64_tpt_32_sp_op_CI_CI_sbrr_dirReg
	.p2align	8
	.type	fft_rtc_back_len416_factors_13_2_16_wgs_64_tpt_32_sp_op_CI_CI_sbrr_dirReg,@function
fft_rtc_back_len416_factors_13_2_16_wgs_64_tpt_32_sp_op_CI_CI_sbrr_dirReg: ; @fft_rtc_back_len416_factors_13_2_16_wgs_64_tpt_32_sp_op_CI_CI_sbrr_dirReg
; %bb.0:
	s_clause 0x2
	s_load_dwordx4 s[16:19], s[4:5], 0x18
	s_load_dwordx4 s[12:15], s[4:5], 0x0
	;; [unrolled: 1-line block ×3, first 2 shown]
	v_lshrrev_b32_e32 v2, 5, v0
	v_mov_b32_e32 v1, 0
	v_mov_b32_e32 v5, 0
	;; [unrolled: 1-line block ×3, first 2 shown]
	s_waitcnt lgkmcnt(0)
	s_load_dwordx2 s[20:21], s[16:17], 0x0
	s_load_dwordx2 s[2:3], s[18:19], 0x0
	v_cmp_lt_u64_e64 s0, s[14:15], 2
	v_lshl_or_b32 v3, s6, 1, v2
	v_mov_b32_e32 v4, v1
	s_and_b32 vcc_lo, exec_lo, s0
	s_cbranch_vccnz .LBB0_8
; %bb.1:
	s_load_dwordx2 s[0:1], s[4:5], 0x10
	v_mov_b32_e32 v5, 0
	v_mov_b32_e32 v6, 0
	s_add_u32 s6, s18, 8
	s_addc_u32 s7, s19, 0
	s_add_u32 s22, s16, 8
	s_addc_u32 s23, s17, 0
	v_mov_b32_e32 v29, v6
	v_mov_b32_e32 v28, v5
	s_mov_b64 s[26:27], 1
	s_waitcnt lgkmcnt(0)
	s_add_u32 s24, s0, 8
	s_addc_u32 s25, s1, 0
.LBB0_2:                                ; =>This Inner Loop Header: Depth=1
	s_load_dwordx2 s[28:29], s[24:25], 0x0
                                        ; implicit-def: $vgpr30_vgpr31
	s_mov_b32 s0, exec_lo
	s_waitcnt lgkmcnt(0)
	v_or_b32_e32 v2, s29, v4
	v_cmpx_ne_u64_e32 0, v[1:2]
	s_xor_b32 s1, exec_lo, s0
	s_cbranch_execz .LBB0_4
; %bb.3:                                ;   in Loop: Header=BB0_2 Depth=1
	v_cvt_f32_u32_e32 v2, s28
	v_cvt_f32_u32_e32 v7, s29
	s_sub_u32 s0, 0, s28
	s_subb_u32 s30, 0, s29
	v_fmac_f32_e32 v2, 0x4f800000, v7
	v_rcp_f32_e32 v2, v2
	v_mul_f32_e32 v2, 0x5f7ffffc, v2
	v_mul_f32_e32 v7, 0x2f800000, v2
	v_trunc_f32_e32 v7, v7
	v_fmac_f32_e32 v2, 0xcf800000, v7
	v_cvt_u32_f32_e32 v7, v7
	v_cvt_u32_f32_e32 v2, v2
	v_mul_lo_u32 v8, s0, v7
	v_mul_hi_u32 v9, s0, v2
	v_mul_lo_u32 v10, s30, v2
	v_add_nc_u32_e32 v8, v9, v8
	v_mul_lo_u32 v9, s0, v2
	v_add_nc_u32_e32 v8, v8, v10
	v_mul_hi_u32 v10, v2, v9
	v_mul_lo_u32 v11, v2, v8
	v_mul_hi_u32 v12, v2, v8
	v_mul_hi_u32 v13, v7, v9
	v_mul_lo_u32 v9, v7, v9
	v_mul_hi_u32 v14, v7, v8
	v_mul_lo_u32 v8, v7, v8
	v_add_co_u32 v10, vcc_lo, v10, v11
	v_add_co_ci_u32_e32 v11, vcc_lo, 0, v12, vcc_lo
	v_add_co_u32 v9, vcc_lo, v10, v9
	v_add_co_ci_u32_e32 v9, vcc_lo, v11, v13, vcc_lo
	v_add_co_ci_u32_e32 v10, vcc_lo, 0, v14, vcc_lo
	v_add_co_u32 v8, vcc_lo, v9, v8
	v_add_co_ci_u32_e32 v9, vcc_lo, 0, v10, vcc_lo
	v_add_co_u32 v2, vcc_lo, v2, v8
	v_add_co_ci_u32_e32 v7, vcc_lo, v7, v9, vcc_lo
	v_mul_hi_u32 v8, s0, v2
	v_mul_lo_u32 v10, s30, v2
	v_mul_lo_u32 v9, s0, v7
	v_add_nc_u32_e32 v8, v8, v9
	v_mul_lo_u32 v9, s0, v2
	v_add_nc_u32_e32 v8, v8, v10
	v_mul_hi_u32 v10, v2, v9
	v_mul_lo_u32 v11, v2, v8
	v_mul_hi_u32 v12, v2, v8
	v_mul_hi_u32 v13, v7, v9
	v_mul_lo_u32 v9, v7, v9
	v_mul_hi_u32 v14, v7, v8
	v_mul_lo_u32 v8, v7, v8
	v_add_co_u32 v10, vcc_lo, v10, v11
	v_add_co_ci_u32_e32 v11, vcc_lo, 0, v12, vcc_lo
	v_add_co_u32 v9, vcc_lo, v10, v9
	v_add_co_ci_u32_e32 v9, vcc_lo, v11, v13, vcc_lo
	v_add_co_ci_u32_e32 v10, vcc_lo, 0, v14, vcc_lo
	v_add_co_u32 v8, vcc_lo, v9, v8
	v_add_co_ci_u32_e32 v9, vcc_lo, 0, v10, vcc_lo
	v_add_co_u32 v2, vcc_lo, v2, v8
	v_add_co_ci_u32_e32 v11, vcc_lo, v7, v9, vcc_lo
	v_mul_hi_u32 v13, v3, v2
	v_mad_u64_u32 v[9:10], null, v4, v2, 0
	v_mad_u64_u32 v[7:8], null, v3, v11, 0
	v_mad_u64_u32 v[11:12], null, v4, v11, 0
	v_add_co_u32 v2, vcc_lo, v13, v7
	v_add_co_ci_u32_e32 v7, vcc_lo, 0, v8, vcc_lo
	v_add_co_u32 v2, vcc_lo, v2, v9
	v_add_co_ci_u32_e32 v2, vcc_lo, v7, v10, vcc_lo
	v_add_co_ci_u32_e32 v7, vcc_lo, 0, v12, vcc_lo
	v_add_co_u32 v2, vcc_lo, v2, v11
	v_add_co_ci_u32_e32 v9, vcc_lo, 0, v7, vcc_lo
	v_mul_lo_u32 v10, s29, v2
	v_mad_u64_u32 v[7:8], null, s28, v2, 0
	v_mul_lo_u32 v11, s28, v9
	v_sub_co_u32 v7, vcc_lo, v3, v7
	v_add3_u32 v8, v8, v11, v10
	v_sub_nc_u32_e32 v10, v4, v8
	v_subrev_co_ci_u32_e64 v10, s0, s29, v10, vcc_lo
	v_add_co_u32 v11, s0, v2, 2
	v_add_co_ci_u32_e64 v12, s0, 0, v9, s0
	v_sub_co_u32 v13, s0, v7, s28
	v_sub_co_ci_u32_e32 v8, vcc_lo, v4, v8, vcc_lo
	v_subrev_co_ci_u32_e64 v10, s0, 0, v10, s0
	v_cmp_le_u32_e32 vcc_lo, s28, v13
	v_cmp_eq_u32_e64 s0, s29, v8
	v_cndmask_b32_e64 v13, 0, -1, vcc_lo
	v_cmp_le_u32_e32 vcc_lo, s29, v10
	v_cndmask_b32_e64 v14, 0, -1, vcc_lo
	v_cmp_le_u32_e32 vcc_lo, s28, v7
	;; [unrolled: 2-line block ×3, first 2 shown]
	v_cndmask_b32_e64 v15, 0, -1, vcc_lo
	v_cmp_eq_u32_e32 vcc_lo, s29, v10
	v_cndmask_b32_e64 v7, v15, v7, s0
	v_cndmask_b32_e32 v10, v14, v13, vcc_lo
	v_add_co_u32 v13, vcc_lo, v2, 1
	v_add_co_ci_u32_e32 v14, vcc_lo, 0, v9, vcc_lo
	v_cmp_ne_u32_e32 vcc_lo, 0, v10
	v_cndmask_b32_e32 v8, v14, v12, vcc_lo
	v_cndmask_b32_e32 v10, v13, v11, vcc_lo
	v_cmp_ne_u32_e32 vcc_lo, 0, v7
	v_cndmask_b32_e32 v31, v9, v8, vcc_lo
	v_cndmask_b32_e32 v30, v2, v10, vcc_lo
.LBB0_4:                                ;   in Loop: Header=BB0_2 Depth=1
	s_andn2_saveexec_b32 s0, s1
	s_cbranch_execz .LBB0_6
; %bb.5:                                ;   in Loop: Header=BB0_2 Depth=1
	v_cvt_f32_u32_e32 v2, s28
	s_sub_i32 s1, 0, s28
	v_mov_b32_e32 v31, v1
	v_rcp_iflag_f32_e32 v2, v2
	v_mul_f32_e32 v2, 0x4f7ffffe, v2
	v_cvt_u32_f32_e32 v2, v2
	v_mul_lo_u32 v7, s1, v2
	v_mul_hi_u32 v7, v2, v7
	v_add_nc_u32_e32 v2, v2, v7
	v_mul_hi_u32 v2, v3, v2
	v_mul_lo_u32 v7, v2, s28
	v_add_nc_u32_e32 v8, 1, v2
	v_sub_nc_u32_e32 v7, v3, v7
	v_subrev_nc_u32_e32 v9, s28, v7
	v_cmp_le_u32_e32 vcc_lo, s28, v7
	v_cndmask_b32_e32 v7, v7, v9, vcc_lo
	v_cndmask_b32_e32 v2, v2, v8, vcc_lo
	v_cmp_le_u32_e32 vcc_lo, s28, v7
	v_add_nc_u32_e32 v8, 1, v2
	v_cndmask_b32_e32 v30, v2, v8, vcc_lo
.LBB0_6:                                ;   in Loop: Header=BB0_2 Depth=1
	s_or_b32 exec_lo, exec_lo, s0
	v_mul_lo_u32 v2, v31, s28
	v_mul_lo_u32 v9, v30, s29
	s_load_dwordx2 s[0:1], s[22:23], 0x0
	v_mad_u64_u32 v[7:8], null, v30, s28, 0
	s_load_dwordx2 s[28:29], s[6:7], 0x0
	s_add_u32 s26, s26, 1
	s_addc_u32 s27, s27, 0
	s_add_u32 s6, s6, 8
	s_addc_u32 s7, s7, 0
	s_add_u32 s22, s22, 8
	v_add3_u32 v2, v8, v9, v2
	v_sub_co_u32 v3, vcc_lo, v3, v7
	s_addc_u32 s23, s23, 0
	s_add_u32 s24, s24, 8
	v_sub_co_ci_u32_e32 v2, vcc_lo, v4, v2, vcc_lo
	s_addc_u32 s25, s25, 0
	s_waitcnt lgkmcnt(0)
	v_mul_lo_u32 v4, s0, v2
	v_mul_lo_u32 v7, s1, v3
	v_mad_u64_u32 v[5:6], null, s0, v3, v[5:6]
	v_mul_lo_u32 v2, s28, v2
	v_mul_lo_u32 v8, s29, v3
	v_mad_u64_u32 v[28:29], null, s28, v3, v[28:29]
	v_cmp_ge_u64_e64 s0, s[26:27], s[14:15]
	v_add3_u32 v6, v7, v6, v4
	v_add3_u32 v29, v8, v29, v2
	s_and_b32 vcc_lo, exec_lo, s0
	s_cbranch_vccnz .LBB0_9
; %bb.7:                                ;   in Loop: Header=BB0_2 Depth=1
	v_mov_b32_e32 v3, v30
	v_mov_b32_e32 v4, v31
	s_branch .LBB0_2
.LBB0_8:
	v_mov_b32_e32 v29, v6
	v_mov_b32_e32 v31, v4
	;; [unrolled: 1-line block ×4, first 2 shown]
.LBB0_9:
	s_load_dwordx2 s[0:1], s[4:5], 0x28
	s_lshl_b64 s[6:7], s[14:15], 3
	v_and_b32_e32 v40, 31, v0
	s_add_u32 s4, s18, s6
	s_addc_u32 s5, s19, s7
                                        ; implicit-def: $sgpr14_sgpr15
                                        ; implicit-def: $vgpr41
                                        ; implicit-def: $vgpr42
                                        ; implicit-def: $vgpr38
                                        ; implicit-def: $vgpr39
                                        ; implicit-def: $vgpr43
                                        ; implicit-def: $vgpr44
	s_waitcnt lgkmcnt(0)
	v_cmp_gt_u64_e32 vcc_lo, s[0:1], v[30:31]
	v_cmp_le_u64_e64 s0, s[0:1], v[30:31]
	s_and_saveexec_b32 s1, s0
	s_xor_b32 s0, exec_lo, s1
; %bb.10:
	v_and_b32_e32 v40, 31, v0
	s_mov_b64 s[14:15], 0
                                        ; implicit-def: $vgpr5_vgpr6
	v_or_b32_e32 v41, 32, v40
	v_or_b32_e32 v42, 64, v40
	;; [unrolled: 1-line block ×6, first 2 shown]
; %bb.11:
	s_or_saveexec_b32 s1, s0
	v_mov_b32_e32 v20, s15
	v_mov_b32_e32 v19, s14
                                        ; implicit-def: $vgpr26
                                        ; implicit-def: $vgpr22
                                        ; implicit-def: $vgpr16
                                        ; implicit-def: $vgpr12
                                        ; implicit-def: $vgpr8
                                        ; implicit-def: $vgpr2
                                        ; implicit-def: $vgpr4
                                        ; implicit-def: $vgpr10
                                        ; implicit-def: $vgpr14
                                        ; implicit-def: $vgpr18
                                        ; implicit-def: $vgpr24
                                        ; implicit-def: $vgpr33
	s_xor_b32 exec_lo, exec_lo, s1
	s_cbranch_execz .LBB0_13
; %bb.12:
	s_add_u32 s6, s16, s6
	s_addc_u32 s7, s17, s7
	v_or_b32_e32 v41, 32, v40
	s_load_dwordx2 s[6:7], s[6:7], 0x0
	v_or_b32_e32 v42, 64, v40
	v_mad_u64_u32 v[1:2], null, s20, v40, 0
	v_lshlrev_b64 v[3:4], 3, v[5:6]
	v_mad_u64_u32 v[5:6], null, s20, v41, 0
	v_or_b32_e32 v38, 0x60, v40
	v_mad_u64_u32 v[7:8], null, s20, v42, 0
	v_mad_u64_u32 v[13:14], null, s21, v40, v[2:3]
	;; [unrolled: 1-line block ×3, first 2 shown]
	v_mov_b32_e32 v2, v6
	v_or_b32_e32 v39, 0x80, v40
	v_mov_b32_e32 v6, v8
	v_or_b32_e32 v43, 0xa0, v40
	v_or_b32_e32 v44, 0xc0, v40
	;; [unrolled: 1-line block ×3, first 2 shown]
	s_waitcnt lgkmcnt(0)
	v_mul_lo_u32 v15, s7, v30
	v_mul_lo_u32 v16, s6, v31
	v_mad_u64_u32 v[11:12], null, s6, v30, 0
	v_mov_b32_e32 v8, v10
	v_mad_u64_u32 v[17:18], null, s20, v39, 0
	v_or_b32_e32 v46, 0x160, v40
	v_or_b32_e32 v47, 0x180, v40
	v_add3_u32 v12, v12, v16, v15
	v_mad_u64_u32 v[14:15], null, s21, v41, v[2:3]
	v_mad_u64_u32 v[15:16], null, s21, v42, v[6:7]
	v_lshlrev_b64 v[10:11], 3, v[11:12]
	v_mov_b32_e32 v2, v13
	v_mad_u64_u32 v[12:13], null, s21, v38, v[8:9]
	v_mov_b32_e32 v6, v14
	v_mad_u64_u32 v[13:14], null, s20, v44, 0
	v_add_co_u32 v10, s0, s8, v10
	v_add_co_ci_u32_e64 v11, s0, s9, v11, s0
	v_mov_b32_e32 v8, v15
	v_lshlrev_b64 v[1:2], 3, v[1:2]
	v_add_co_u32 v27, s0, v10, v3
	v_add_co_ci_u32_e64 v45, s0, v11, v4, s0
	v_lshlrev_b64 v[3:4], 3, v[5:6]
	v_lshlrev_b64 v[6:7], 3, v[7:8]
	v_mov_b32_e32 v10, v12
	v_mov_b32_e32 v5, v18
	v_add_co_u32 v1, s0, v27, v1
	v_add_co_ci_u32_e64 v2, s0, v45, v2, s0
	v_lshlrev_b64 v[8:9], 3, v[9:10]
	v_mad_u64_u32 v[10:11], null, s21, v39, v[5:6]
	v_add_co_u32 v3, s0, v27, v3
	v_mad_u64_u32 v[11:12], null, s20, v43, 0
	v_add_co_ci_u32_e64 v4, s0, v45, v4, s0
	v_add_co_u32 v5, s0, v27, v6
	v_add_co_ci_u32_e64 v6, s0, v45, v7, s0
	v_add_co_u32 v7, s0, v27, v8
	v_add_co_ci_u32_e64 v8, s0, v45, v9, s0
	v_mov_b32_e32 v9, v12
	v_mov_b32_e32 v18, v10
	s_clause 0x3
	global_load_dwordx2 v[19:20], v[1:2], off
	global_load_dwordx2 v[25:26], v[3:4], off
	;; [unrolled: 1-line block ×4, first 2 shown]
	v_mov_b32_e32 v3, v14
	v_mad_u64_u32 v[9:10], null, s21, v43, v[9:10]
	v_or_b32_e32 v10, 0xe0, v40
	v_lshlrev_b64 v[1:2], 3, v[17:18]
	v_mad_u64_u32 v[4:5], null, s20, v10, 0
	v_mov_b32_e32 v12, v9
	v_add_co_u32 v1, s0, v27, v1
	v_add_co_ci_u32_e64 v2, s0, v45, v2, s0
	v_mad_u64_u32 v[6:7], null, s21, v44, v[3:4]
	v_mov_b32_e32 v3, v5
	v_lshlrev_b64 v[7:8], 3, v[11:12]
	v_mov_b32_e32 v14, v6
	v_mad_u64_u32 v[5:6], null, s21, v10, v[3:4]
	v_mad_u64_u32 v[9:10], null, s20, v23, 0
	v_lshlrev_b64 v[11:12], 3, v[13:14]
	v_add_co_u32 v6, s0, v27, v7
	v_add_co_ci_u32_e64 v7, s0, v45, v8, s0
	v_or_b32_e32 v8, 0x120, v40
	v_add_co_u32 v17, s0, v27, v11
	v_lshlrev_b64 v[4:5], 3, v[4:5]
	v_mov_b32_e32 v3, v10
	v_mad_u64_u32 v[13:14], null, s20, v8, 0
	v_add_co_ci_u32_e64 v18, s0, v45, v12, s0
	v_or_b32_e32 v12, 0x140, v40
	v_mad_u64_u32 v[10:11], null, s21, v23, v[3:4]
	v_add_co_u32 v4, s0, v27, v4
	v_mad_u64_u32 v[23:24], null, s20, v12, 0
	v_mov_b32_e32 v3, v14
	v_add_co_ci_u32_e64 v5, s0, v45, v5, s0
	v_lshlrev_b64 v[9:10], 3, v[9:10]
	v_mad_u64_u32 v[32:33], null, s21, v8, v[3:4]
	v_mov_b32_e32 v3, v24
	v_mad_u64_u32 v[33:34], null, s20, v46, 0
	v_add_co_u32 v9, s0, v27, v9
	v_mad_u64_u32 v[35:36], null, s21, v12, v[3:4]
	s_clause 0x3
	global_load_dwordx2 v[11:12], v[1:2], off
	global_load_dwordx2 v[7:8], v[6:7], off
	;; [unrolled: 1-line block ×4, first 2 shown]
	v_mad_u64_u32 v[36:37], null, s20, v47, 0
	v_mov_b32_e32 v5, v34
	v_mov_b32_e32 v14, v32
	v_add_co_ci_u32_e64 v10, s0, v45, v10, s0
	v_mov_b32_e32 v24, v35
	v_mad_u64_u32 v[5:6], null, s21, v46, v[5:6]
	v_mov_b32_e32 v6, v37
	v_lshlrev_b64 v[13:14], 3, v[13:14]
	v_lshlrev_b64 v[23:24], 3, v[23:24]
	v_mov_b32_e32 v34, v5
	v_add_co_u32 v5, s0, v27, v13
	s_waitcnt vmcnt(2)
	v_mad_u64_u32 v[17:18], null, s21, v47, v[6:7]
	v_add_co_ci_u32_e64 v6, s0, v45, v14, s0
	v_lshlrev_b64 v[13:14], 3, v[33:34]
	v_mov_b32_e32 v37, v17
	v_add_co_u32 v17, s0, v27, v23
	v_add_co_ci_u32_e64 v18, s0, v45, v24, s0
	v_lshlrev_b64 v[23:24], 3, v[36:37]
	v_add_co_u32 v32, s0, v27, v13
	v_add_co_ci_u32_e64 v33, s0, v45, v14, s0
	v_add_co_u32 v34, s0, v27, v23
	v_add_co_ci_u32_e64 v35, s0, v45, v24, s0
	s_clause 0x4
	global_load_dwordx2 v[9:10], v[9:10], off
	global_load_dwordx2 v[13:14], v[5:6], off
	;; [unrolled: 1-line block ×5, first 2 shown]
.LBB0_13:
	s_or_b32 exec_lo, exec_lo, s1
	v_add_f32_e32 v5, v25, v19
	v_add_f32_e32 v6, v26, v20
	v_and_b32_e32 v0, 32, v0
	s_waitcnt vmcnt(0)
	v_add_f32_e32 v34, v26, v33
	v_sub_f32_e32 v26, v26, v33
	v_add_f32_e32 v5, v21, v5
	v_add_f32_e32 v6, v22, v6
	v_cmp_ne_u32_e64 s0, 0, v0
	v_add_f32_e32 v27, v25, v32
	v_sub_f32_e32 v35, v25, v32
	v_add_f32_e32 v5, v15, v5
	v_add_f32_e32 v6, v16, v6
	v_mul_f32_e32 v37, 0xbf52af12, v26
	v_mul_f32_e32 v46, 0xbf7e222b, v26
	v_mul_f32_e32 v56, 0xbf29c268, v26
	v_add_f32_e32 v0, v11, v5
	v_add_f32_e32 v5, v12, v6
	v_mul_f32_e32 v6, 0xbeedf032, v26
	v_sub_f32_e32 v61, v22, v24
	v_mul_f32_e32 v36, 0xbeedf032, v35
	v_add_f32_e32 v0, v7, v0
	v_add_f32_e32 v5, v8, v5
	v_fmamk_f32 v48, v27, 0x3f62ad3f, v6
	v_fma_f32 v6, 0x3f62ad3f, v27, -v6
	v_mul_f32_e32 v45, 0xbf52af12, v35
	v_add_f32_e32 v0, v1, v0
	v_add_f32_e32 v5, v2, v5
	v_mul_f32_e32 v47, 0xbf7e222b, v35
	v_add_f32_e32 v53, v6, v19
	v_fmamk_f32 v50, v27, 0x3f116cb1, v37
	v_add_f32_e32 v0, v3, v0
	v_add_f32_e32 v5, v4, v5
	v_fma_f32 v37, 0x3f116cb1, v27, -v37
	v_fmamk_f32 v52, v27, 0x3df6dbef, v46
	v_mul_f32_e32 v57, 0xbf29c268, v35
	v_add_f32_e32 v0, v9, v0
	v_add_f32_e32 v5, v10, v5
	v_fmamk_f32 v58, v27, 0xbf3f9e67, v56
	v_fma_f32 v56, 0xbf3f9e67, v27, -v56
	v_mul_f32_e32 v62, 0xbf52af12, v61
	v_add_f32_e32 v0, v13, v0
	v_add_f32_e32 v5, v14, v5
	v_fma_f32 v49, 0x3f62ad3f, v34, -v36
	v_fmac_f32_e32 v36, 0x3f62ad3f, v34
	v_fma_f32 v51, 0x3f116cb1, v34, -v45
	v_add_f32_e32 v0, v17, v0
	v_add_f32_e32 v5, v18, v5
	v_fmac_f32_e32 v45, 0x3f116cb1, v34
	v_add_f32_e32 v48, v48, v19
	v_fma_f32 v59, 0xbf3f9e67, v34, -v57
	v_add_f32_e32 v0, v23, v0
	v_add_f32_e32 v6, v24, v5
	v_fmac_f32_e32 v57, 0xbf3f9e67, v34
	v_add_f32_e32 v22, v22, v24
	v_add_f32_e32 v49, v49, v20
	;; [unrolled: 1-line block ×3, first 2 shown]
	v_mul_f32_e32 v0, 0xbf6f5d39, v26
	v_mul_f32_e32 v26, 0xbe750f2a, v26
	v_add_f32_e32 v6, v33, v6
	v_fma_f32 v33, 0x3df6dbef, v27, -v46
	v_mul_f32_e32 v46, 0xbf6f5d39, v35
	v_fmamk_f32 v54, v27, 0xbeb58ec6, v0
	v_fma_f32 v0, 0xbeb58ec6, v27, -v0
	v_fmamk_f32 v60, v27, 0xbf788fa5, v26
	v_mul_f32_e32 v35, 0xbe750f2a, v35
	v_fma_f32 v26, 0xbf788fa5, v27, -v26
	v_add_f32_e32 v27, v21, v23
	v_sub_f32_e32 v21, v21, v23
	v_fma_f32 v32, 0x3df6dbef, v34, -v47
	v_fmac_f32_e32 v47, 0x3df6dbef, v34
	v_fma_f32 v55, 0xbeb58ec6, v34, -v46
	v_fmac_f32_e32 v46, 0xbeb58ec6, v34
	;; [unrolled: 2-line block ×3, first 2 shown]
	v_fmamk_f32 v24, v27, 0x3f116cb1, v62
	v_mul_f32_e32 v34, 0xbf52af12, v21
	v_add_f32_e32 v36, v36, v20
	v_add_f32_e32 v50, v50, v19
	;; [unrolled: 1-line block ×22, first 2 shown]
	v_fma_f32 v26, 0x3f116cb1, v22, -v34
	v_mul_f32_e32 v35, 0xbf6f5d39, v61
	v_fma_f32 v48, 0x3f116cb1, v27, -v62
	v_fmac_f32_e32 v34, 0x3f116cb1, v22
	v_mul_f32_e32 v62, 0xbf6f5d39, v21
	v_add_f32_e32 v26, v26, v49
	v_fmamk_f32 v49, v27, 0xbeb58ec6, v35
	v_add_f32_e32 v48, v48, v53
	v_add_f32_e32 v34, v34, v36
	v_fma_f32 v36, 0xbeb58ec6, v22, -v62
	v_mul_f32_e32 v53, 0xbe750f2a, v61
	v_fma_f32 v35, 0xbeb58ec6, v27, -v35
	v_fmac_f32_e32 v62, 0xbeb58ec6, v22
	v_add_f32_e32 v49, v49, v50
	v_add_f32_e32 v36, v36, v51
	v_fmamk_f32 v50, v27, 0xbf788fa5, v53
	v_mul_f32_e32 v51, 0xbe750f2a, v21
	v_add_f32_e32 v35, v35, v37
	v_add_f32_e32 v37, v62, v45
	v_mul_f32_e32 v45, 0x3f29c268, v61
	v_add_f32_e32 v50, v50, v52
	v_fma_f32 v52, 0xbf788fa5, v22, -v51
	v_fma_f32 v53, 0xbf788fa5, v27, -v53
	v_fmac_f32_e32 v51, 0xbf788fa5, v22
	v_fmamk_f32 v62, v27, 0xbf3f9e67, v45
	v_mul_f32_e32 v63, 0x3f29c268, v21
	v_add_f32_e32 v32, v52, v32
	v_add_f32_e32 v33, v53, v33
	;; [unrolled: 1-line block ×4, first 2 shown]
	v_fma_f32 v52, 0xbf3f9e67, v22, -v63
	v_mul_f32_e32 v53, 0x3f7e222b, v61
	v_fma_f32 v45, 0xbf3f9e67, v27, -v45
	v_mul_f32_e32 v54, 0x3f7e222b, v21
	v_mul_f32_e32 v61, 0x3eedf032, v61
	v_add_f32_e32 v52, v52, v55
	v_fmamk_f32 v55, v27, 0x3df6dbef, v53
	v_add_f32_e32 v0, v45, v0
	v_fma_f32 v45, 0x3df6dbef, v22, -v54
	v_fma_f32 v53, 0x3df6dbef, v27, -v53
	v_fmac_f32_e32 v54, 0x3df6dbef, v22
	v_add_f32_e32 v55, v55, v58
	v_fmamk_f32 v58, v27, 0x3f62ad3f, v61
	v_add_f32_e32 v45, v45, v59
	v_mul_f32_e32 v21, 0x3eedf032, v21
	v_add_f32_e32 v53, v53, v56
	v_sub_f32_e32 v56, v16, v18
	v_add_f32_e32 v59, v15, v17
	v_sub_f32_e32 v15, v15, v17
	v_fmac_f32_e32 v63, 0xbf3f9e67, v22
	v_add_f32_e32 v54, v54, v57
	v_add_f32_e32 v57, v58, v60
	v_fma_f32 v58, 0x3f62ad3f, v22, -v21
	v_mul_f32_e32 v60, 0xbf7e222b, v56
	v_fma_f32 v17, 0x3f62ad3f, v27, -v61
	v_fmac_f32_e32 v21, 0x3f62ad3f, v22
	v_add_f32_e32 v16, v16, v18
	v_mul_f32_e32 v22, 0xbf7e222b, v15
	v_fmamk_f32 v18, v59, 0x3df6dbef, v60
	v_add_f32_e32 v17, v17, v19
	v_add_f32_e32 v19, v21, v20
	v_mul_f32_e32 v21, 0xbe750f2a, v56
	v_fma_f32 v20, 0x3df6dbef, v16, -v22
	v_add_f32_e32 v18, v18, v24
	v_fma_f32 v24, 0x3df6dbef, v59, -v60
	v_fmac_f32_e32 v22, 0x3df6dbef, v16
	v_mul_f32_e32 v27, 0xbe750f2a, v15
	v_add_f32_e32 v20, v20, v26
	v_fmamk_f32 v26, v59, 0xbf788fa5, v21
	v_add_f32_e32 v24, v24, v48
	v_add_f32_e32 v22, v22, v34
	v_fma_f32 v34, 0xbf788fa5, v16, -v27
	v_mul_f32_e32 v48, 0x3f6f5d39, v56
	v_add_f32_e32 v26, v26, v49
	v_fma_f32 v21, 0xbf788fa5, v59, -v21
	v_fmac_f32_e32 v27, 0xbf788fa5, v16
	v_mul_f32_e32 v49, 0x3f6f5d39, v15
	v_add_f32_e32 v34, v34, v36
	v_fmamk_f32 v36, v59, 0xbeb58ec6, v48
	v_add_f32_e32 v21, v21, v35
	v_add_f32_e32 v27, v27, v37
	v_mul_f32_e32 v35, 0x3eedf032, v56
	v_fma_f32 v37, 0xbeb58ec6, v16, -v49
	v_fmac_f32_e32 v49, 0xbeb58ec6, v16
	v_add_f32_e32 v36, v36, v50
	v_add_f32_e32 v23, v58, v23
	v_fmamk_f32 v50, v59, 0x3f62ad3f, v35
	v_add_f32_e32 v32, v37, v32
	v_add_f32_e32 v37, v49, v47
	v_mul_f32_e32 v49, 0xbf52af12, v56
	v_fma_f32 v48, 0xbeb58ec6, v59, -v48
	v_mul_f32_e32 v58, 0x3eedf032, v15
	v_add_f32_e32 v47, v50, v51
	v_fma_f32 v35, 0x3f62ad3f, v59, -v35
	v_fmamk_f32 v51, v59, 0x3f116cb1, v49
	v_fma_f32 v49, 0x3f116cb1, v59, -v49
	v_add_f32_e32 v33, v48, v33
	v_fma_f32 v48, 0x3f62ad3f, v16, -v58
	v_mul_f32_e32 v50, 0xbf52af12, v15
	v_add_f32_e32 v0, v35, v0
	v_add_f32_e32 v49, v49, v53
	v_sub_f32_e32 v53, v12, v14
	v_add_f32_e32 v48, v48, v52
	v_fma_f32 v35, 0x3f116cb1, v16, -v50
	v_mul_f32_e32 v52, 0xbf29c268, v56
	v_add_f32_e32 v51, v51, v55
	v_fmac_f32_e32 v50, 0x3f116cb1, v16
	v_mul_f32_e32 v15, 0xbf29c268, v15
	v_add_f32_e32 v55, v11, v13
	v_mul_f32_e32 v56, 0xbf6f5d39, v53
	v_sub_f32_e32 v11, v11, v13
	v_fmac_f32_e32 v58, 0x3f62ad3f, v16
	v_add_f32_e32 v50, v50, v54
	v_fma_f32 v54, 0xbf3f9e67, v16, -v15
	v_fma_f32 v13, 0xbf3f9e67, v59, -v52
	v_fmac_f32_e32 v15, 0xbf3f9e67, v16
	v_add_f32_e32 v12, v12, v14
	v_fmamk_f32 v14, v55, 0xbeb58ec6, v56
	v_mul_f32_e32 v16, 0xbf6f5d39, v11
	v_add_f32_e32 v35, v35, v45
	v_fmamk_f32 v45, v59, 0xbf3f9e67, v52
	v_add_f32_e32 v13, v13, v17
	v_add_f32_e32 v15, v15, v19
	;; [unrolled: 1-line block ×3, first 2 shown]
	v_fma_f32 v17, 0xbeb58ec6, v12, -v16
	v_mul_f32_e32 v18, 0x3f29c268, v53
	v_fma_f32 v19, 0xbeb58ec6, v55, -v56
	v_fmac_f32_e32 v16, 0xbeb58ec6, v12
	v_mul_f32_e32 v52, 0x3f29c268, v11
	v_add_f32_e32 v17, v17, v20
	v_fmamk_f32 v20, v55, 0xbf3f9e67, v18
	v_add_f32_e32 v19, v19, v24
	v_add_f32_e32 v16, v16, v22
	v_fma_f32 v22, 0xbf3f9e67, v12, -v52
	v_mul_f32_e32 v24, 0x3eedf032, v53
	v_add_f32_e32 v20, v20, v26
	v_fma_f32 v18, 0xbf3f9e67, v55, -v18
	v_fmac_f32_e32 v52, 0xbf3f9e67, v12
	v_add_f32_e32 v22, v22, v34
	v_fmamk_f32 v26, v55, 0x3f62ad3f, v24
	v_mul_f32_e32 v34, 0x3eedf032, v11
	v_add_f32_e32 v23, v54, v23
	v_add_f32_e32 v18, v18, v21
	;; [unrolled: 1-line block ×3, first 2 shown]
	v_mul_f32_e32 v27, 0xbf7e222b, v53
	v_add_f32_e32 v26, v26, v36
	v_fma_f32 v36, 0x3f62ad3f, v12, -v34
	v_fma_f32 v24, 0x3f62ad3f, v55, -v24
	v_fmac_f32_e32 v34, 0x3f62ad3f, v12
	v_mul_f32_e32 v54, 0xbf7e222b, v11
	v_fmamk_f32 v52, v55, 0x3df6dbef, v27
	v_add_f32_e32 v32, v36, v32
	v_add_f32_e32 v24, v24, v33
	;; [unrolled: 1-line block ×3, first 2 shown]
	v_fma_f32 v36, 0x3df6dbef, v12, -v54
	v_mul_f32_e32 v37, 0x3e750f2a, v53
	v_add_f32_e32 v34, v52, v47
	v_fma_f32 v27, 0x3df6dbef, v55, -v27
	v_mul_f32_e32 v47, 0x3e750f2a, v11
	v_add_f32_e32 v36, v36, v48
	v_fmamk_f32 v48, v55, 0xbf788fa5, v37
	v_fma_f32 v37, 0xbf788fa5, v55, -v37
	v_add_f32_e32 v0, v27, v0
	v_fma_f32 v27, 0xbf788fa5, v12, -v47
	v_mul_f32_e32 v52, 0x3f52af12, v53
	v_fmac_f32_e32 v47, 0xbf788fa5, v12
	v_add_f32_e32 v37, v37, v49
	v_sub_f32_e32 v49, v8, v10
	v_add_f32_e32 v45, v45, v57
	v_add_f32_e32 v48, v48, v51
	;; [unrolled: 1-line block ×3, first 2 shown]
	v_fmamk_f32 v35, v55, 0x3f116cb1, v52
	v_mul_f32_e32 v11, 0x3f52af12, v11
	v_add_f32_e32 v47, v47, v50
	v_add_f32_e32 v50, v7, v9
	v_mul_f32_e32 v51, 0xbf29c268, v49
	v_sub_f32_e32 v7, v7, v9
	v_fmac_f32_e32 v54, 0x3df6dbef, v12
	v_add_f32_e32 v35, v35, v45
	v_fma_f32 v45, 0x3f116cb1, v12, -v11
	v_fma_f32 v9, 0x3f116cb1, v55, -v52
	v_fmac_f32_e32 v11, 0x3f116cb1, v12
	v_add_f32_e32 v8, v8, v10
	v_fmamk_f32 v10, v50, 0xbf3f9e67, v51
	v_mul_f32_e32 v12, 0xbf29c268, v7
	v_add_f32_e32 v23, v45, v23
	v_add_f32_e32 v9, v9, v13
	v_add_f32_e32 v11, v11, v15
	v_add_f32_e32 v10, v10, v14
	v_fma_f32 v13, 0xbf3f9e67, v8, -v12
	v_mul_f32_e32 v14, 0x3f7e222b, v49
	v_fma_f32 v15, 0xbf3f9e67, v50, -v51
	v_fmac_f32_e32 v12, 0xbf3f9e67, v8
	v_mul_f32_e32 v45, 0x3f7e222b, v7
	v_add_f32_e32 v13, v13, v17
	v_fmamk_f32 v17, v50, 0x3df6dbef, v14
	v_add_f32_e32 v15, v15, v19
	v_add_f32_e32 v12, v12, v16
	v_fma_f32 v16, 0x3df6dbef, v8, -v45
	v_mul_f32_e32 v19, 0xbf52af12, v49
	v_fma_f32 v14, 0x3df6dbef, v50, -v14
	v_fmac_f32_e32 v45, 0x3df6dbef, v8
	v_add_f32_e32 v46, v63, v46
	v_add_f32_e32 v17, v17, v20
	;; [unrolled: 1-line block ×3, first 2 shown]
	v_fmamk_f32 v20, v50, 0x3f116cb1, v19
	v_mul_f32_e32 v22, 0xbf52af12, v7
	v_add_f32_e32 v14, v14, v18
	v_add_f32_e32 v18, v45, v21
	v_mul_f32_e32 v21, 0x3e750f2a, v49
	v_add_f32_e32 v46, v58, v46
	v_add_f32_e32 v20, v20, v26
	v_fma_f32 v26, 0x3f116cb1, v8, -v22
	v_fma_f32 v19, 0x3f116cb1, v50, -v19
	v_fmac_f32_e32 v22, 0x3f116cb1, v8
	v_fmamk_f32 v45, v50, 0xbf788fa5, v21
	v_mul_f32_e32 v51, 0x3e750f2a, v7
	v_add_f32_e32 v46, v54, v46
	v_add_f32_e32 v26, v26, v32
	;; [unrolled: 1-line block ×5, first 2 shown]
	v_fma_f32 v22, 0xbf788fa5, v8, -v51
	v_mul_f32_e32 v33, 0x3eedf032, v49
	v_fma_f32 v21, 0xbf788fa5, v50, -v21
	v_mul_f32_e32 v34, 0x3eedf032, v7
	v_fmac_f32_e32 v51, 0xbf788fa5, v8
	v_add_f32_e32 v36, v22, v36
	v_fmamk_f32 v22, v50, 0x3f62ad3f, v33
	v_add_f32_e32 v21, v21, v0
	v_fma_f32 v0, 0x3f62ad3f, v8, -v34
	v_add_f32_e32 v45, v51, v46
	v_mul_f32_e32 v46, 0xbf6f5d39, v49
	v_add_f32_e32 v48, v22, v48
	v_fma_f32 v22, 0x3f62ad3f, v50, -v33
	v_add_f32_e32 v27, v0, v27
	v_mul_f32_e32 v7, 0xbf6f5d39, v7
	v_fmamk_f32 v0, v50, 0xbeb58ec6, v46
	v_fmac_f32_e32 v34, 0x3f62ad3f, v8
	v_add_f32_e32 v33, v22, v37
	v_sub_f32_e32 v37, v2, v4
	v_sub_f32_e32 v49, v1, v3
	v_add_f32_e32 v35, v0, v35
	v_fma_f32 v0, 0xbeb58ec6, v8, -v7
	v_fmac_f32_e32 v7, 0xbeb58ec6, v8
	v_add_f32_e32 v34, v34, v47
	v_add_f32_e32 v47, v1, v3
	v_mul_f32_e32 v22, 0xbe750f2a, v37
	v_fma_f32 v1, 0xbeb58ec6, v50, -v46
	v_add_f32_e32 v4, v2, v4
	v_mul_f32_e32 v3, 0xbe750f2a, v49
	v_add_f32_e32 v51, v7, v11
	v_mul_f32_e32 v7, 0x3eedf032, v37
	v_fmamk_f32 v2, v47, 0xbf788fa5, v22
	v_add_f32_e32 v50, v1, v9
	v_fma_f32 v1, 0xbf788fa5, v4, -v3
	v_fmac_f32_e32 v3, 0xbf788fa5, v4
	v_mul_f32_e32 v8, 0x3eedf032, v49
	v_fmamk_f32 v9, v47, 0x3f62ad3f, v7
	v_fma_f32 v7, 0x3f62ad3f, v47, -v7
	v_add_f32_e32 v46, v0, v23
	v_add_f32_e32 v0, v2, v10
	v_fma_f32 v2, 0xbf788fa5, v47, -v22
	v_add_f32_e32 v23, v3, v12
	v_fma_f32 v3, 0x3f62ad3f, v4, -v8
	v_mul_f32_e32 v10, 0xbf29c268, v37
	v_mul_f32_e32 v12, 0xbf29c268, v49
	v_add_f32_e32 v7, v7, v14
	v_mul_f32_e32 v14, 0x3f52af12, v37
	v_add_f32_e32 v1, v1, v13
	v_add_f32_e32 v22, v2, v15
	;; [unrolled: 1-line block ×3, first 2 shown]
	v_fmac_f32_e32 v8, 0x3f62ad3f, v4
	v_add_f32_e32 v3, v3, v16
	v_fmamk_f32 v9, v47, 0xbf3f9e67, v10
	v_fma_f32 v11, 0xbf3f9e67, v4, -v12
	v_fma_f32 v13, 0xbf3f9e67, v47, -v10
	v_fmamk_f32 v15, v47, 0x3f116cb1, v14
	v_mul_f32_e32 v16, 0x3f52af12, v49
	v_cndmask_b32_e64 v25, 0, 0x1a0, s0
	v_add_f32_e32 v8, v8, v18
	v_add_f32_e32 v9, v9, v20
	v_fmac_f32_e32 v12, 0xbf3f9e67, v4
	v_add_f32_e32 v10, v11, v26
	v_add_f32_e32 v11, v13, v19
	;; [unrolled: 1-line block ×3, first 2 shown]
	v_fma_f32 v15, 0x3f116cb1, v4, -v16
	v_fma_f32 v18, 0x3f116cb1, v47, -v14
	v_mul_f32_e32 v20, 0xbf6f5d39, v49
	v_mul_f32_e32 v17, 0xbf6f5d39, v37
	v_add_f32_e32 v12, v12, v24
	v_add_f32_e32 v14, v15, v36
	;; [unrolled: 1-line block ×3, first 2 shown]
	v_fma_f32 v18, 0xbeb58ec6, v4, -v20
	v_mul_f32_e32 v24, 0x3f7e222b, v37
	v_mul_f32_e32 v36, 0x3f7e222b, v49
	v_lshl_add_u32 v37, v25, 3, 0
	v_fmamk_f32 v19, v47, 0xbeb58ec6, v17
	v_fma_f32 v21, 0xbeb58ec6, v47, -v17
	v_fmac_f32_e32 v16, 0x3f116cb1, v4
	v_add_f32_e32 v18, v18, v27
	v_fmac_f32_e32 v20, 0xbeb58ec6, v4
	v_fma_f32 v27, 0x3df6dbef, v4, -v36
	v_fmac_f32_e32 v36, 0x3df6dbef, v4
	v_mad_u32_u24 v4, 0x68, v40, v37
	v_add_f32_e32 v17, v19, v48
	v_add_f32_e32 v19, v21, v33
	v_fmamk_f32 v21, v47, 0x3df6dbef, v24
	v_fma_f32 v24, 0x3df6dbef, v47, -v24
	v_add_f32_e32 v16, v16, v45
	v_mad_i32_i24 v45, 0xffffffa0, v40, v4
	v_add_f32_e32 v27, v27, v46
	v_add_f32_e32 v26, v21, v35
	;; [unrolled: 1-line block ×5, first 2 shown]
	s_load_dwordx2 s[4:5], s[4:5], 0x0
	ds_write2_b64 v4, v[5:6], v[0:1] offset1:1
	ds_write2_b64 v4, v[2:3], v[9:10] offset0:2 offset1:3
	ds_write2_b64 v4, v[13:14], v[17:18] offset0:4 offset1:5
	;; [unrolled: 1-line block ×5, first 2 shown]
	v_add_nc_u32_e32 v8, 0x800, v45
	v_lshl_add_u32 v46, v40, 3, v37
	v_lshl_add_u32 v9, v41, 3, v37
	;; [unrolled: 1-line block ×4, first 2 shown]
	ds_write_b64 v4, v[22:23] offset:96
	s_waitcnt lgkmcnt(0)
	s_barrier
	buffer_gl0_inv
	ds_read2_b64 v[4:7], v45 offset0:208 offset1:240
	ds_read2_b64 v[0:3], v8 offset0:16 offset1:48
	v_lshl_add_u32 v12, v39, 3, v37
	v_lshl_add_u32 v13, v43, 3, v37
	ds_read_b64 v[32:33], v46
	ds_read_b64 v[14:15], v9
	;; [unrolled: 1-line block ×4, first 2 shown]
	ds_read2_b64 v[8:11], v8 offset0:80 offset1:112
	ds_read_b64 v[34:35], v12
	ds_read_b64 v[18:19], v13
	v_cmp_gt_u32_e64 s0, 16, v40
	v_lshlrev_b32_e32 v47, 3, v25
                                        ; implicit-def: $vgpr13
	s_and_saveexec_b32 s1, s0
	s_cbranch_execz .LBB0_15
; %bb.14:
	v_lshlrev_b32_e32 v12, 3, v44
	v_add3_u32 v12, 0, v12, v47
	ds_read_b64 v[22:23], v12
	ds_read_b64 v[12:13], v45 offset:3200
.LBB0_15:
	s_or_b32 exec_lo, exec_lo, s1
	v_and_b32_e32 v17, 0xff, v41
	v_and_b32_e32 v16, 0xff, v40
	;; [unrolled: 1-line block ×5, first 2 shown]
	v_mul_lo_u16 v17, 0x4f, v17
	v_mul_lo_u16 v16, 0x4f, v16
	v_and_b32_e32 v25, 0xff, v43
	v_mov_b32_e32 v48, 3
	v_mul_lo_u16 v24, 0x4f, v24
	v_lshrrev_b16 v55, 10, v17
	v_lshrrev_b16 v54, 10, v16
	v_and_b32_e32 v16, 0xff, v44
	v_mul_lo_u16 v17, 0x4f, v20
	v_mul_lo_u16 v20, 0x4f, v21
	;; [unrolled: 1-line block ×6, first 2 shown]
	v_lshrrev_b16 v56, 10, v17
	v_sub_nc_u16 v41, v41, v49
	v_lshrrev_b16 v57, 10, v20
	v_lshrrev_b16 v58, 10, v24
	v_sub_nc_u16 v21, v40, v21
	v_lshrrev_b16 v61, 10, v25
	v_lshlrev_b32_sdwa v60, v48, v41 dst_sel:DWORD dst_unused:UNUSED_PAD src0_sel:DWORD src1_sel:BYTE_0
	v_lshrrev_b16 v41, 10, v16
	v_mul_lo_u16 v16, v56, 13
	v_mul_lo_u16 v17, v57, 13
	;; [unrolled: 1-line block ×3, first 2 shown]
	v_lshlrev_b32_sdwa v59, v48, v21 dst_sel:DWORD dst_unused:UNUSED_PAD src0_sel:DWORD src1_sel:BYTE_0
	v_mul_lo_u16 v21, v61, 13
	v_mul_lo_u16 v24, v41, 13
	v_sub_nc_u16 v16, v42, v16
	v_sub_nc_u16 v25, v38, v17
	;; [unrolled: 1-line block ×5, first 2 shown]
	v_lshlrev_b32_sdwa v62, v48, v16 dst_sel:DWORD dst_unused:UNUSED_PAD src0_sel:DWORD src1_sel:BYTE_0
	v_lshlrev_b32_sdwa v63, v48, v25 dst_sel:DWORD dst_unused:UNUSED_PAD src0_sel:DWORD src1_sel:BYTE_0
	;; [unrolled: 1-line block ×5, first 2 shown]
	s_clause 0x6
	global_load_dwordx2 v[16:17], v59, s[12:13]
	global_load_dwordx2 v[20:21], v60, s[12:13]
	;; [unrolled: 1-line block ×7, first 2 shown]
	v_and_b32_e32 v44, 0xffff, v54
	v_and_b32_e32 v54, 0xffff, v55
	v_and_b32_e32 v55, 0xffff, v56
	v_and_b32_e32 v56, 0xffff, v57
	v_and_b32_e32 v57, 0xffff, v58
	v_and_b32_e32 v58, 0xffff, v61
	v_mad_u32_u24 v44, 0xd0, v44, 0
	v_mad_u32_u24 v54, 0xd0, v54, 0
	;; [unrolled: 1-line block ×6, first 2 shown]
	v_add3_u32 v44, v44, v59, v47
	v_add3_u32 v54, v54, v60, v47
	;; [unrolled: 1-line block ×6, first 2 shown]
	s_waitcnt vmcnt(0) lgkmcnt(0)
	s_barrier
	buffer_gl0_inv
	v_mul_f32_e32 v58, v17, v5
	v_mul_f32_e32 v17, v17, v4
	;; [unrolled: 1-line block ×14, first 2 shown]
	v_fmac_f32_e32 v58, v16, v4
	v_fma_f32 v4, v16, v5, -v17
	v_fmac_f32_e32 v59, v20, v6
	v_fma_f32 v5, v20, v7, -v21
	;; [unrolled: 2-line block ×7, first 2 shown]
	v_sub_f32_e32 v12, v32, v58
	v_sub_f32_e32 v13, v33, v4
	;; [unrolled: 1-line block ×14, first 2 shown]
	v_fma_f32 v32, v32, 2.0, -v12
	v_fma_f32 v33, v33, 2.0, -v13
	;; [unrolled: 1-line block ×14, first 2 shown]
	ds_write2_b64 v44, v[32:33], v[12:13] offset1:13
	ds_write2_b64 v54, v[14:15], v[8:9] offset1:13
	;; [unrolled: 1-line block ×6, first 2 shown]
	s_and_saveexec_b32 s1, s0
	s_cbranch_execz .LBB0_17
; %bb.16:
	v_and_b32_e32 v22, 0xffff, v41
	v_mad_u32_u24 v22, 0xd0, v22, 0
	v_add3_u32 v22, v22, v38, v47
	ds_write2_b64 v22, v[6:7], v[20:21] offset1:13
.LBB0_17:
	s_or_b32 exec_lo, exec_lo, s1
	v_cmp_gt_u32_e64 s0, 26, v40
	s_waitcnt lgkmcnt(0)
	s_barrier
	buffer_gl0_inv
                                        ; implicit-def: $vgpr35
	s_and_saveexec_b32 s1, s0
	s_cbranch_execz .LBB0_19
; %bb.18:
	v_add_nc_u32_e32 v4, 0x400, v45
	v_add_nc_u32_e32 v20, 0x800, v45
	ds_read2_b64 v[12:15], v45 offset0:26 offset1:52
	ds_read2_b64 v[8:11], v45 offset0:78 offset1:104
	;; [unrolled: 1-line block ×7, first 2 shown]
	ds_read_b64 v[32:33], v46
	ds_read_b64 v[34:35], v45 offset:3120
.LBB0_19:
	s_or_b32 exec_lo, exec_lo, s1
	v_cmp_gt_u32_e64 s1, 26, v40
	s_and_b32 s1, vcc_lo, s1
	s_and_saveexec_b32 s6, s1
	s_cbranch_execz .LBB0_21
; %bb.20:
	v_subrev_nc_u32_e32 v36, 26, v40
	v_mov_b32_e32 v37, 0
	v_mul_lo_u32 v70, s5, v30
	v_mul_lo_u32 v71, s4, v31
	v_add_nc_u32_e32 v73, 26, v40
	v_cndmask_b32_e64 v36, v36, v40, s0
	v_add_nc_u32_e32 v76, 0x68, v40
	v_add_nc_u32_e32 v79, 0xb6, v40
	;; [unrolled: 1-line block ×3, first 2 shown]
	v_lshlrev_b64 v[28:29], 3, v[28:29]
	v_mul_i32_i24_e32 v36, 15, v36
	v_add_nc_u32_e32 v81, 0xea, v40
	v_lshlrev_b64 v[36:37], 3, v[36:37]
	v_add_co_u32 v36, vcc_lo, s12, v36
	v_add_co_ci_u32_e32 v37, vcc_lo, s13, v37, vcc_lo
	s_clause 0x7
	global_load_dwordx4 v[42:45], v[36:37], off offset:136
	global_load_dwordx4 v[46:49], v[36:37], off offset:200
	;; [unrolled: 1-line block ×7, first 2 shown]
	global_load_dwordx2 v[38:39], v[36:37], off offset:216
	v_mad_u64_u32 v[36:37], null, s4, v30, 0
	v_mad_u64_u32 v[30:31], null, s2, v40, 0
	v_add3_u32 v37, v37, v71, v70
	v_add_nc_u32_e32 v71, 0x152, v40
	s_waitcnt vmcnt(7) lgkmcnt(6)
	v_mul_f32_e32 v41, v25, v43
	v_mul_f32_e32 v43, v24, v43
	s_waitcnt vmcnt(6) lgkmcnt(2)
	v_mul_f32_e32 v77, v23, v49
	v_mul_f32_e32 v72, v27, v45
	;; [unrolled: 1-line block ×3, first 2 shown]
	v_fmac_f32_e32 v41, v24, v42
	v_fma_f32 v75, v25, v42, -v43
	v_mul_f32_e32 v24, v22, v49
	v_mul_f32_e32 v49, v21, v47
	;; [unrolled: 1-line block ×3, first 2 shown]
	v_fmac_f32_e32 v72, v26, v44
	v_fma_f32 v74, v27, v44, -v45
	v_add_nc_u32_e32 v44, 52, v40
	v_fmac_f32_e32 v49, v20, v46
	v_fma_f32 v78, v21, v46, -v25
	s_waitcnt vmcnt(5)
	v_mul_f32_e32 v20, v14, v53
	v_mul_f32_e32 v53, v15, v53
	;; [unrolled: 1-line block ×4, first 2 shown]
	v_add_nc_u32_e32 v45, 0x4e, v40
	v_fma_f32 v82, v15, v52, -v20
	v_fmac_f32_e32 v53, v14, v52
	v_fma_f32 v52, v13, v50, -v21
	v_fmac_f32_e32 v51, v12, v50
	s_waitcnt vmcnt(4)
	v_mul_f32_e32 v12, v18, v57
	v_mul_f32_e32 v57, v19, v57
	;; [unrolled: 1-line block ×4, first 2 shown]
	v_mad_u64_u32 v[14:15], null, s2, v73, 0
	v_fma_f32 v83, v19, v56, -v12
	v_fmac_f32_e32 v57, v18, v56
	v_fma_f32 v56, v17, v54, -v13
	v_fmac_f32_e32 v55, v16, v54
	s_waitcnt vmcnt(3)
	v_mul_f32_e32 v54, v11, v61
	v_mul_f32_e32 v12, v8, v59
	;; [unrolled: 1-line block ×4, first 2 shown]
	v_mad_u64_u32 v[16:17], null, s2, v44, 0
	v_fmac_f32_e32 v54, v10, v60
	v_fma_f32 v61, v9, v58, -v12
	v_fmac_f32_e32 v59, v8, v58
	v_fma_f32 v58, v11, v60, -v13
	s_waitcnt vmcnt(2)
	v_mul_f32_e32 v60, v7, v65
	v_mul_f32_e32 v8, v4, v63
	;; [unrolled: 1-line block ×4, first 2 shown]
	v_mad_u64_u32 v[18:19], null, s2, v45, 0
	v_fmac_f32_e32 v60, v6, v64
	v_fma_f32 v65, v5, v62, -v8
	v_fmac_f32_e32 v63, v4, v62
	v_fma_f32 v62, v7, v64, -v9
	s_waitcnt vmcnt(1)
	v_mul_f32_e32 v64, v1, v67
	v_mul_f32_e32 v4, v2, v69
	v_mad_u64_u32 v[20:21], null, s2, v76, 0
	v_mul_f32_e32 v5, v0, v67
	v_fmac_f32_e32 v64, v0, v66
	v_mov_b32_e32 v0, v31
	v_mul_f32_e32 v67, v3, v69
	v_add_nc_u32_e32 v47, 0x82, v40
	v_fma_f32 v69, v3, v68, -v4
	s_waitcnt vmcnt(0) lgkmcnt(0)
	v_mul_f32_e32 v3, v34, v39
	v_fma_f32 v66, v1, v66, -v5
	v_mad_u64_u32 v[0:1], null, s3, v40, v[0:1]
	v_fmac_f32_e32 v67, v2, v68
	v_mov_b32_e32 v1, v15
	v_mov_b32_e32 v2, v17
	v_fmac_f32_e32 v77, v22, v48
	v_fma_f32 v48, v23, v48, -v24
	v_mad_u64_u32 v[22:23], null, s2, v47, 0
	v_fma_f32 v70, v35, v38, -v3
	v_mov_b32_e32 v3, v19
	v_mov_b32_e32 v4, v21
	v_add_nc_u32_e32 v46, 0x9c, v40
	v_mad_u64_u32 v[5:6], null, s3, v73, v[1:2]
	v_mad_u64_u32 v[6:7], null, s3, v44, v[2:3]
	;; [unrolled: 1-line block ×4, first 2 shown]
	v_mov_b32_e32 v1, v23
	v_mad_u64_u32 v[24:25], null, s2, v46, 0
	v_mad_u64_u32 v[7:8], null, s3, v76, v[4:5]
	;; [unrolled: 1-line block ×3, first 2 shown]
	v_lshlrev_b64 v[9:10], 3, v[36:37]
	v_mul_f32_e32 v68, v35, v39
	v_mov_b32_e32 v1, v27
	v_mov_b32_e32 v3, v25
	v_mov_b32_e32 v31, v0
	v_add_nc_u32_e32 v50, 0x104, v40
	v_fmac_f32_e32 v68, v34, v38
	v_mad_u64_u32 v[34:35], null, s3, v79, v[1:2]
	v_add_co_u32 v1, vcc_lo, s10, v9
	v_mad_u64_u32 v[42:43], null, s2, v80, 0
	v_mad_u64_u32 v[12:13], null, s3, v46, v[3:4]
	v_add_co_ci_u32_e32 v3, vcc_lo, s11, v10, vcc_lo
	v_mov_b32_e32 v15, v5
	v_lshlrev_b64 v[30:31], 3, v[30:31]
	v_add_co_u32 v10, vcc_lo, v1, v28
	v_mov_b32_e32 v17, v6
	v_mad_u64_u32 v[35:36], null, s2, v81, 0
	v_add_co_ci_u32_e32 v11, vcc_lo, v3, v29, vcc_lo
	v_mad_u64_u32 v[28:29], null, s2, v50, 0
	v_lshlrev_b64 v[14:15], 3, v[14:15]
	v_mov_b32_e32 v19, v2
	v_mov_b32_e32 v0, v43
	v_lshlrev_b64 v[16:17], 3, v[16:17]
	v_add_co_u32 v30, vcc_lo, v10, v30
	v_mov_b32_e32 v21, v7
	v_add_co_ci_u32_e32 v31, vcc_lo, v11, v31, vcc_lo
	v_lshlrev_b64 v[18:19], 3, v[18:19]
	v_add_co_u32 v14, vcc_lo, v10, v14
	v_mov_b32_e32 v23, v8
	v_mad_u64_u32 v[37:38], null, s3, v80, v[0:1]
	v_add_nc_u32_e32 v4, 0x11e, v40
	v_mov_b32_e32 v3, v36
	v_mov_b32_e32 v2, v29
	v_add_nc_u32_e32 v9, 0x138, v40
	v_add_co_ci_u32_e32 v15, vcc_lo, v11, v15, vcc_lo
	v_lshlrev_b64 v[20:21], 3, v[20:21]
	v_add_co_u32 v16, vcc_lo, v10, v16
	v_mov_b32_e32 v25, v12
	v_add_co_ci_u32_e32 v17, vcc_lo, v11, v17, vcc_lo
	v_lshlrev_b64 v[22:23], 3, v[22:23]
	v_add_co_u32 v18, vcc_lo, v10, v18
	v_mad_u64_u32 v[0:1], null, s2, v4, 0
	v_mad_u64_u32 v[38:39], null, s3, v81, v[3:4]
	;; [unrolled: 1-line block ×4, first 2 shown]
	v_mov_b32_e32 v27, v34
	v_add_co_ci_u32_e32 v19, vcc_lo, v11, v19, vcc_lo
	v_lshlrev_b64 v[24:25], 3, v[24:25]
	v_add_co_u32 v20, vcc_lo, v10, v20
	v_mov_b32_e32 v43, v37
	v_add_co_ci_u32_e32 v21, vcc_lo, v11, v21, vcc_lo
	v_lshlrev_b64 v[26:27], 3, v[26:27]
	v_add_co_u32 v22, vcc_lo, v10, v22
	v_add_co_ci_u32_e32 v23, vcc_lo, v11, v23, vcc_lo
	v_mad_u64_u32 v[45:46], null, s3, v4, v[1:2]
	v_mad_u64_u32 v[4:5], null, s2, v71, 0
	v_mov_b32_e32 v36, v38
	v_lshlrev_b64 v[37:38], 3, v[42:43]
	v_add_co_u32 v24, vcc_lo, v10, v24
	v_mov_b32_e32 v1, v3
	v_add_co_ci_u32_e32 v25, vcc_lo, v11, v25, vcc_lo
	v_add_co_u32 v26, vcc_lo, v10, v26
	v_add_co_ci_u32_e32 v27, vcc_lo, v11, v27, vcc_lo
	v_lshlrev_b64 v[34:35], 3, v[35:36]
	v_add_co_u32 v36, vcc_lo, v10, v37
	v_mad_u64_u32 v[8:9], null, s3, v9, v[1:2]
	v_add_nc_u32_e32 v13, 0x16c, v40
	v_add_nc_u32_e32 v12, 0x186, v40
	v_mov_b32_e32 v3, v5
	v_mov_b32_e32 v29, v44
	v_add_co_ci_u32_e32 v37, vcc_lo, v11, v38, vcc_lo
	v_sub_f32_e32 v1, v82, v83
	v_sub_f32_e32 v5, v72, v77
	;; [unrolled: 1-line block ×19, first 2 shown]
	v_fma_f32 v43, v64, 2.0, -v43
	v_sub_f32_e32 v64, v44, v46
	v_fma_f32 v65, v66, 2.0, -v47
	v_fma_f32 v66, v75, 2.0, -v49
	;; [unrolled: 1-line block ×8, first 2 shown]
	v_add_f32_e32 v62, v40, v39
	v_fma_f32 v5, v72, 2.0, -v5
	v_add_f32_e32 v47, v48, v47
	v_add_f32_e32 v49, v50, v49
	v_fma_f32 v58, v58, 2.0, -v55
	v_add_f32_e32 v55, v56, v55
	v_fma_f32 v33, v33, 2.0, -v9
	v_fma_f32 v59, v61, 2.0, -v42
	;; [unrolled: 1-line block ×5, first 2 shown]
	v_fmamk_f32 v67, v57, 0x3f3504f3, v60
	v_fmamk_f32 v54, v63, 0x3f3504f3, v64
	v_sub_f32_e32 v66, v52, v66
	v_sub_f32_e32 v43, v53, v43
	;; [unrolled: 1-line block ×3, first 2 shown]
	v_fma_f32 v44, v44, 2.0, -v64
	v_fma_f32 v38, v42, 2.0, -v63
	v_fmamk_f32 v68, v47, 0x3f3504f3, v49
	v_fma_f32 v40, v40, 2.0, -v62
	v_fmac_f32_e32 v67, 0xbf3504f3, v62
	v_fmamk_f32 v62, v62, 0x3f3504f3, v55
	v_sub_f32_e32 v58, v33, v58
	v_sub_f32_e32 v5, v46, v5
	;; [unrolled: 1-line block ×5, first 2 shown]
	v_fma_f32 v42, v48, 2.0, -v47
	v_fma_f32 v48, v50, 2.0, -v49
	;; [unrolled: 1-line block ×3, first 2 shown]
	v_fmac_f32_e32 v54, 0xbf3504f3, v47
	v_sub_f32_e32 v47, v66, v43
	v_fma_f32 v43, v53, 2.0, -v43
	v_fmamk_f32 v53, v38, 0xbf3504f3, v44
	v_fma_f32 v9, v9, 2.0, -v60
	v_fma_f32 v1, v1, 2.0, -v57
	v_fmac_f32_e32 v68, 0x3f3504f3, v63
	v_fmac_f32_e32 v62, 0x3f3504f3, v57
	v_sub_f32_e32 v50, v58, v5
	v_add_f32_e32 v57, v65, v41
	v_fma_f32 v61, v61, 2.0, -v39
	v_fma_f32 v5, v46, 2.0, -v5
	v_fma_f32 v46, v59, 2.0, -v65
	v_fmamk_f32 v59, v42, 0xbf3504f3, v48
	v_fmamk_f32 v72, v40, 0xbf3504f3, v56
	v_fma_f32 v65, v33, 2.0, -v58
	v_fma_f32 v51, v51, 2.0, -v41
	;; [unrolled: 1-line block ×3, first 2 shown]
	v_fmac_f32_e32 v53, 0xbf3504f3, v42
	v_fma_f32 v42, v52, 2.0, -v66
	v_add_f32_e32 v63, v39, v69
	v_fmamk_f32 v70, v1, 0xbf3504f3, v9
	v_fmac_f32_e32 v59, 0x3f3504f3, v38
	v_fmamk_f32 v33, v54, 0x3f6c835e, v67
	v_fmamk_f32 v32, v68, 0x3f6c835e, v62
	v_fmac_f32_e32 v72, 0x3f3504f3, v1
	v_fma_f32 v1, v49, 2.0, -v68
	v_fmamk_f32 v39, v47, 0x3f3504f3, v50
	v_sub_f32_e32 v52, v65, v61
	v_sub_f32_e32 v49, v51, v43
	;; [unrolled: 1-line block ×4, first 2 shown]
	v_fma_f32 v60, v60, 2.0, -v67
	v_fma_f32 v61, v64, 2.0, -v54
	v_fmac_f32_e32 v70, 0xbf3504f3, v40
	v_fmac_f32_e32 v33, 0xbec3ef15, v68
	v_fmamk_f32 v38, v57, 0x3f3504f3, v63
	v_fma_f32 v74, v55, 2.0, -v62
	v_fma_f32 v68, v58, 2.0, -v50
	;; [unrolled: 1-line block ×3, first 2 shown]
	v_fmac_f32_e32 v32, 0x3ec3ef15, v54
	v_fmac_f32_e32 v39, 0xbf3504f3, v57
	v_fmamk_f32 v40, v59, 0x3ec3ef15, v72
	v_fma_f32 v66, v42, 2.0, -v43
	v_add_f32_e32 v42, v5, v43
	v_sub_f32_e32 v43, v52, v49
	v_fma_f32 v76, v51, 2.0, -v49
	v_fmamk_f32 v51, v61, 0xbec3ef15, v60
	v_fma_f32 v64, v41, 2.0, -v57
	v_fma_f32 v75, v69, 2.0, -v63
	v_fmac_f32_e32 v38, 0x3f3504f3, v47
	v_fmamk_f32 v41, v53, 0x3ec3ef15, v70
	v_fma_f32 v69, v48, 2.0, -v59
	v_fma_f32 v47, v67, 2.0, -v33
	;; [unrolled: 1-line block ×4, first 2 shown]
	v_fmamk_f32 v50, v1, 0xbec3ef15, v74
	v_fma_f32 v44, v44, 2.0, -v53
	v_fma_f32 v62, v65, 2.0, -v52
	;; [unrolled: 1-line block ×3, first 2 shown]
	v_fmac_f32_e32 v40, 0x3f6c835e, v53
	v_fma_f32 v53, v52, 2.0, -v43
	v_fma_f32 v52, v5, 2.0, -v42
	v_fmac_f32_e32 v51, 0xbf6c835e, v1
	v_fma_f32 v1, v9, 2.0, -v70
	v_fma_f32 v5, v56, 2.0, -v72
	v_fmamk_f32 v54, v64, 0xbf3504f3, v75
	v_fmamk_f32 v55, v58, 0xbf3504f3, v68
	v_fmac_f32_e32 v41, 0xbf6c835e, v59
	v_fmamk_f32 v57, v44, 0xbf6c835e, v1
	v_fmamk_f32 v56, v69, 0xbf6c835e, v5
	v_fmac_f32_e32 v54, 0x3f3504f3, v58
	v_sub_f32_e32 v59, v62, v66
	v_sub_f32_e32 v58, v67, v76
	v_fmac_f32_e32 v57, 0xbec3ef15, v69
	v_fmac_f32_e32 v56, 0x3ec3ef15, v44
	;; [unrolled: 1-line block ×4, first 2 shown]
	v_fma_f32 v65, v62, 2.0, -v59
	v_fma_f32 v64, v67, 2.0, -v58
	;; [unrolled: 1-line block ×6, first 2 shown]
	v_add_co_u32 v34, vcc_lo, v10, v34
	v_fma_f32 v48, v63, 2.0, -v38
	v_fma_f32 v63, v60, 2.0, -v51
	;; [unrolled: 1-line block ×3, first 2 shown]
	v_mad_u64_u32 v[6:7], null, s2, v13, 0
	v_add_co_ci_u32_e32 v35, vcc_lo, v11, v35, vcc_lo
	v_fma_f32 v61, v70, 2.0, -v41
	v_fma_f32 v60, v72, 2.0, -v40
	global_store_dwordx2 v[30:31], v[64:65], off
	global_store_dwordx2 v[14:15], v[66:67], off
	;; [unrolled: 1-line block ×10, first 2 shown]
	v_mad_u64_u32 v[14:15], null, s3, v71, v[3:4]
	v_mad_u64_u32 v[15:16], null, s2, v12, 0
	v_mov_b32_e32 v3, v8
	v_mad_u64_u32 v[7:8], null, s3, v13, v[7:8]
	v_mov_b32_e32 v1, v45
	v_lshlrev_b64 v[28:29], 3, v[28:29]
	v_mov_b32_e32 v5, v14
	v_mov_b32_e32 v8, v16
	v_lshlrev_b64 v[2:3], 3, v[2:3]
	v_lshlrev_b64 v[0:1], 3, v[0:1]
	;; [unrolled: 1-line block ×3, first 2 shown]
	v_add_co_u32 v28, vcc_lo, v10, v28
	v_mad_u64_u32 v[8:9], null, s3, v12, v[8:9]
	v_add_co_ci_u32_e32 v29, vcc_lo, v11, v29, vcc_lo
	v_add_co_u32 v0, vcc_lo, v10, v0
	v_lshlrev_b64 v[4:5], 3, v[4:5]
	v_add_co_ci_u32_e32 v1, vcc_lo, v11, v1, vcc_lo
	v_mov_b32_e32 v16, v8
	v_add_co_u32 v2, vcc_lo, v10, v2
	v_add_co_ci_u32_e32 v3, vcc_lo, v11, v3, vcc_lo
	v_add_co_u32 v4, vcc_lo, v10, v4
	v_lshlrev_b64 v[8:9], 3, v[15:16]
	v_add_co_ci_u32_e32 v5, vcc_lo, v11, v5, vcc_lo
	v_add_co_u32 v6, vcc_lo, v10, v6
	v_add_co_ci_u32_e32 v7, vcc_lo, v11, v7, vcc_lo
	v_add_co_u32 v8, vcc_lo, v10, v8
	v_add_co_ci_u32_e32 v9, vcc_lo, v11, v9, vcc_lo
	global_store_dwordx2 v[28:29], v[54:55], off
	global_store_dwordx2 v[0:1], v[50:51], off
	;; [unrolled: 1-line block ×6, first 2 shown]
.LBB0_21:
	s_endpgm
	.section	.rodata,"a",@progbits
	.p2align	6, 0x0
	.amdhsa_kernel fft_rtc_back_len416_factors_13_2_16_wgs_64_tpt_32_sp_op_CI_CI_sbrr_dirReg
		.amdhsa_group_segment_fixed_size 0
		.amdhsa_private_segment_fixed_size 0
		.amdhsa_kernarg_size 104
		.amdhsa_user_sgpr_count 6
		.amdhsa_user_sgpr_private_segment_buffer 1
		.amdhsa_user_sgpr_dispatch_ptr 0
		.amdhsa_user_sgpr_queue_ptr 0
		.amdhsa_user_sgpr_kernarg_segment_ptr 1
		.amdhsa_user_sgpr_dispatch_id 0
		.amdhsa_user_sgpr_flat_scratch_init 0
		.amdhsa_user_sgpr_private_segment_size 0
		.amdhsa_wavefront_size32 1
		.amdhsa_uses_dynamic_stack 0
		.amdhsa_system_sgpr_private_segment_wavefront_offset 0
		.amdhsa_system_sgpr_workgroup_id_x 1
		.amdhsa_system_sgpr_workgroup_id_y 0
		.amdhsa_system_sgpr_workgroup_id_z 0
		.amdhsa_system_sgpr_workgroup_info 0
		.amdhsa_system_vgpr_workitem_id 0
		.amdhsa_next_free_vgpr 84
		.amdhsa_next_free_sgpr 31
		.amdhsa_reserve_vcc 1
		.amdhsa_reserve_flat_scratch 0
		.amdhsa_float_round_mode_32 0
		.amdhsa_float_round_mode_16_64 0
		.amdhsa_float_denorm_mode_32 3
		.amdhsa_float_denorm_mode_16_64 3
		.amdhsa_dx10_clamp 1
		.amdhsa_ieee_mode 1
		.amdhsa_fp16_overflow 0
		.amdhsa_workgroup_processor_mode 1
		.amdhsa_memory_ordered 1
		.amdhsa_forward_progress 0
		.amdhsa_shared_vgpr_count 0
		.amdhsa_exception_fp_ieee_invalid_op 0
		.amdhsa_exception_fp_denorm_src 0
		.amdhsa_exception_fp_ieee_div_zero 0
		.amdhsa_exception_fp_ieee_overflow 0
		.amdhsa_exception_fp_ieee_underflow 0
		.amdhsa_exception_fp_ieee_inexact 0
		.amdhsa_exception_int_div_zero 0
	.end_amdhsa_kernel
	.text
.Lfunc_end0:
	.size	fft_rtc_back_len416_factors_13_2_16_wgs_64_tpt_32_sp_op_CI_CI_sbrr_dirReg, .Lfunc_end0-fft_rtc_back_len416_factors_13_2_16_wgs_64_tpt_32_sp_op_CI_CI_sbrr_dirReg
                                        ; -- End function
	.section	.AMDGPU.csdata,"",@progbits
; Kernel info:
; codeLenInByte = 8884
; NumSgprs: 33
; NumVgprs: 84
; ScratchSize: 0
; MemoryBound: 0
; FloatMode: 240
; IeeeMode: 1
; LDSByteSize: 0 bytes/workgroup (compile time only)
; SGPRBlocks: 4
; VGPRBlocks: 10
; NumSGPRsForWavesPerEU: 33
; NumVGPRsForWavesPerEU: 84
; Occupancy: 10
; WaveLimiterHint : 1
; COMPUTE_PGM_RSRC2:SCRATCH_EN: 0
; COMPUTE_PGM_RSRC2:USER_SGPR: 6
; COMPUTE_PGM_RSRC2:TRAP_HANDLER: 0
; COMPUTE_PGM_RSRC2:TGID_X_EN: 1
; COMPUTE_PGM_RSRC2:TGID_Y_EN: 0
; COMPUTE_PGM_RSRC2:TGID_Z_EN: 0
; COMPUTE_PGM_RSRC2:TIDIG_COMP_CNT: 0
	.text
	.p2alignl 6, 3214868480
	.fill 48, 4, 3214868480
	.type	__hip_cuid_d1e618982600fbb3,@object ; @__hip_cuid_d1e618982600fbb3
	.section	.bss,"aw",@nobits
	.globl	__hip_cuid_d1e618982600fbb3
__hip_cuid_d1e618982600fbb3:
	.byte	0                               ; 0x0
	.size	__hip_cuid_d1e618982600fbb3, 1

	.ident	"AMD clang version 19.0.0git (https://github.com/RadeonOpenCompute/llvm-project roc-6.4.0 25133 c7fe45cf4b819c5991fe208aaa96edf142730f1d)"
	.section	".note.GNU-stack","",@progbits
	.addrsig
	.addrsig_sym __hip_cuid_d1e618982600fbb3
	.amdgpu_metadata
---
amdhsa.kernels:
  - .args:
      - .actual_access:  read_only
        .address_space:  global
        .offset:         0
        .size:           8
        .value_kind:     global_buffer
      - .offset:         8
        .size:           8
        .value_kind:     by_value
      - .actual_access:  read_only
        .address_space:  global
        .offset:         16
        .size:           8
        .value_kind:     global_buffer
      - .actual_access:  read_only
        .address_space:  global
        .offset:         24
        .size:           8
        .value_kind:     global_buffer
      - .actual_access:  read_only
        .address_space:  global
        .offset:         32
        .size:           8
        .value_kind:     global_buffer
      - .offset:         40
        .size:           8
        .value_kind:     by_value
      - .actual_access:  read_only
        .address_space:  global
        .offset:         48
        .size:           8
        .value_kind:     global_buffer
      - .actual_access:  read_only
        .address_space:  global
        .offset:         56
        .size:           8
        .value_kind:     global_buffer
      - .offset:         64
        .size:           4
        .value_kind:     by_value
      - .actual_access:  read_only
        .address_space:  global
        .offset:         72
        .size:           8
        .value_kind:     global_buffer
      - .actual_access:  read_only
        .address_space:  global
        .offset:         80
        .size:           8
        .value_kind:     global_buffer
      - .actual_access:  read_only
        .address_space:  global
        .offset:         88
        .size:           8
        .value_kind:     global_buffer
      - .actual_access:  write_only
        .address_space:  global
        .offset:         96
        .size:           8
        .value_kind:     global_buffer
    .group_segment_fixed_size: 0
    .kernarg_segment_align: 8
    .kernarg_segment_size: 104
    .language:       OpenCL C
    .language_version:
      - 2
      - 0
    .max_flat_workgroup_size: 64
    .name:           fft_rtc_back_len416_factors_13_2_16_wgs_64_tpt_32_sp_op_CI_CI_sbrr_dirReg
    .private_segment_fixed_size: 0
    .sgpr_count:     33
    .sgpr_spill_count: 0
    .symbol:         fft_rtc_back_len416_factors_13_2_16_wgs_64_tpt_32_sp_op_CI_CI_sbrr_dirReg.kd
    .uniform_work_group_size: 1
    .uses_dynamic_stack: false
    .vgpr_count:     84
    .vgpr_spill_count: 0
    .wavefront_size: 32
    .workgroup_processor_mode: 1
amdhsa.target:   amdgcn-amd-amdhsa--gfx1030
amdhsa.version:
  - 1
  - 2
...

	.end_amdgpu_metadata
